;; amdgpu-corpus repo=ROCm/rocFFT kind=compiled arch=gfx1030 opt=O3
	.text
	.amdgcn_target "amdgcn-amd-amdhsa--gfx1030"
	.amdhsa_code_object_version 6
	.protected	fft_rtc_back_len1870_factors_17_10_11_wgs_187_tpt_187_halfLds_sp_op_CI_CI_unitstride_sbrr_dirReg ; -- Begin function fft_rtc_back_len1870_factors_17_10_11_wgs_187_tpt_187_halfLds_sp_op_CI_CI_unitstride_sbrr_dirReg
	.globl	fft_rtc_back_len1870_factors_17_10_11_wgs_187_tpt_187_halfLds_sp_op_CI_CI_unitstride_sbrr_dirReg
	.p2align	8
	.type	fft_rtc_back_len1870_factors_17_10_11_wgs_187_tpt_187_halfLds_sp_op_CI_CI_unitstride_sbrr_dirReg,@function
fft_rtc_back_len1870_factors_17_10_11_wgs_187_tpt_187_halfLds_sp_op_CI_CI_unitstride_sbrr_dirReg: ; @fft_rtc_back_len1870_factors_17_10_11_wgs_187_tpt_187_halfLds_sp_op_CI_CI_unitstride_sbrr_dirReg
; %bb.0:
	s_clause 0x2
	s_load_dwordx4 s[12:15], s[4:5], 0x0
	s_load_dwordx4 s[8:11], s[4:5], 0x58
	;; [unrolled: 1-line block ×3, first 2 shown]
	v_mul_u32_u24_e32 v1, 0x15f, v0
	v_mov_b32_e32 v3, 0
	v_mov_b32_e32 v31, 0
	;; [unrolled: 1-line block ×3, first 2 shown]
	v_add_nc_u32_sdwa v7, s6, v1 dst_sel:DWORD dst_unused:UNUSED_PAD src0_sel:DWORD src1_sel:WORD_1
	v_mov_b32_e32 v8, v3
	s_waitcnt lgkmcnt(0)
	v_cmp_lt_u64_e64 s0, s[14:15], 2
	s_and_b32 vcc_lo, exec_lo, s0
	s_cbranch_vccnz .LBB0_8
; %bb.1:
	s_load_dwordx2 s[0:1], s[4:5], 0x10
	v_mov_b32_e32 v31, 0
	v_mov_b32_e32 v32, 0
	s_add_u32 s2, s18, 8
	s_addc_u32 s3, s19, 0
	v_mov_b32_e32 v1, v31
	s_add_u32 s6, s16, 8
	v_mov_b32_e32 v2, v32
	s_addc_u32 s7, s17, 0
	s_mov_b64 s[22:23], 1
	s_waitcnt lgkmcnt(0)
	s_add_u32 s20, s0, 8
	s_addc_u32 s21, s1, 0
.LBB0_2:                                ; =>This Inner Loop Header: Depth=1
	s_load_dwordx2 s[24:25], s[20:21], 0x0
                                        ; implicit-def: $vgpr5_vgpr6
	s_mov_b32 s0, exec_lo
	s_waitcnt lgkmcnt(0)
	v_or_b32_e32 v4, s25, v8
	v_cmpx_ne_u64_e32 0, v[3:4]
	s_xor_b32 s1, exec_lo, s0
	s_cbranch_execz .LBB0_4
; %bb.3:                                ;   in Loop: Header=BB0_2 Depth=1
	v_cvt_f32_u32_e32 v4, s24
	v_cvt_f32_u32_e32 v5, s25
	s_sub_u32 s0, 0, s24
	s_subb_u32 s26, 0, s25
	v_fmac_f32_e32 v4, 0x4f800000, v5
	v_rcp_f32_e32 v4, v4
	v_mul_f32_e32 v4, 0x5f7ffffc, v4
	v_mul_f32_e32 v5, 0x2f800000, v4
	v_trunc_f32_e32 v5, v5
	v_fmac_f32_e32 v4, 0xcf800000, v5
	v_cvt_u32_f32_e32 v5, v5
	v_cvt_u32_f32_e32 v4, v4
	v_mul_lo_u32 v6, s0, v5
	v_mul_hi_u32 v9, s0, v4
	v_mul_lo_u32 v10, s26, v4
	v_add_nc_u32_e32 v6, v9, v6
	v_mul_lo_u32 v9, s0, v4
	v_add_nc_u32_e32 v6, v6, v10
	v_mul_hi_u32 v10, v4, v9
	v_mul_lo_u32 v11, v4, v6
	v_mul_hi_u32 v12, v4, v6
	v_mul_hi_u32 v13, v5, v9
	v_mul_lo_u32 v9, v5, v9
	v_mul_hi_u32 v14, v5, v6
	v_mul_lo_u32 v6, v5, v6
	v_add_co_u32 v10, vcc_lo, v10, v11
	v_add_co_ci_u32_e32 v11, vcc_lo, 0, v12, vcc_lo
	v_add_co_u32 v9, vcc_lo, v10, v9
	v_add_co_ci_u32_e32 v9, vcc_lo, v11, v13, vcc_lo
	v_add_co_ci_u32_e32 v10, vcc_lo, 0, v14, vcc_lo
	v_add_co_u32 v6, vcc_lo, v9, v6
	v_add_co_ci_u32_e32 v9, vcc_lo, 0, v10, vcc_lo
	v_add_co_u32 v4, vcc_lo, v4, v6
	v_add_co_ci_u32_e32 v5, vcc_lo, v5, v9, vcc_lo
	v_mul_hi_u32 v6, s0, v4
	v_mul_lo_u32 v10, s26, v4
	v_mul_lo_u32 v9, s0, v5
	v_add_nc_u32_e32 v6, v6, v9
	v_mul_lo_u32 v9, s0, v4
	v_add_nc_u32_e32 v6, v6, v10
	v_mul_hi_u32 v10, v4, v9
	v_mul_lo_u32 v11, v4, v6
	v_mul_hi_u32 v12, v4, v6
	v_mul_hi_u32 v13, v5, v9
	v_mul_lo_u32 v9, v5, v9
	v_mul_hi_u32 v14, v5, v6
	v_mul_lo_u32 v6, v5, v6
	v_add_co_u32 v10, vcc_lo, v10, v11
	v_add_co_ci_u32_e32 v11, vcc_lo, 0, v12, vcc_lo
	v_add_co_u32 v9, vcc_lo, v10, v9
	v_add_co_ci_u32_e32 v9, vcc_lo, v11, v13, vcc_lo
	v_add_co_ci_u32_e32 v10, vcc_lo, 0, v14, vcc_lo
	v_add_co_u32 v6, vcc_lo, v9, v6
	v_add_co_ci_u32_e32 v9, vcc_lo, 0, v10, vcc_lo
	v_add_co_u32 v6, vcc_lo, v4, v6
	v_add_co_ci_u32_e32 v11, vcc_lo, v5, v9, vcc_lo
	v_mul_hi_u32 v13, v7, v6
	v_mad_u64_u32 v[9:10], null, v8, v6, 0
	v_mad_u64_u32 v[4:5], null, v7, v11, 0
	;; [unrolled: 1-line block ×3, first 2 shown]
	v_add_co_u32 v4, vcc_lo, v13, v4
	v_add_co_ci_u32_e32 v5, vcc_lo, 0, v5, vcc_lo
	v_add_co_u32 v4, vcc_lo, v4, v9
	v_add_co_ci_u32_e32 v4, vcc_lo, v5, v10, vcc_lo
	v_add_co_ci_u32_e32 v5, vcc_lo, 0, v12, vcc_lo
	v_add_co_u32 v9, vcc_lo, v4, v11
	v_add_co_ci_u32_e32 v6, vcc_lo, 0, v5, vcc_lo
	v_mul_lo_u32 v10, s25, v9
	v_mad_u64_u32 v[4:5], null, s24, v9, 0
	v_mul_lo_u32 v11, s24, v6
	v_sub_co_u32 v4, vcc_lo, v7, v4
	v_add3_u32 v5, v5, v11, v10
	v_sub_nc_u32_e32 v10, v8, v5
	v_subrev_co_ci_u32_e64 v10, s0, s25, v10, vcc_lo
	v_add_co_u32 v11, s0, v9, 2
	v_add_co_ci_u32_e64 v12, s0, 0, v6, s0
	v_sub_co_u32 v13, s0, v4, s24
	v_sub_co_ci_u32_e32 v5, vcc_lo, v8, v5, vcc_lo
	v_subrev_co_ci_u32_e64 v10, s0, 0, v10, s0
	v_cmp_le_u32_e32 vcc_lo, s24, v13
	v_cmp_eq_u32_e64 s0, s25, v5
	v_cndmask_b32_e64 v13, 0, -1, vcc_lo
	v_cmp_le_u32_e32 vcc_lo, s25, v10
	v_cndmask_b32_e64 v14, 0, -1, vcc_lo
	v_cmp_le_u32_e32 vcc_lo, s24, v4
	;; [unrolled: 2-line block ×3, first 2 shown]
	v_cndmask_b32_e64 v15, 0, -1, vcc_lo
	v_cmp_eq_u32_e32 vcc_lo, s25, v10
	v_cndmask_b32_e64 v4, v15, v4, s0
	v_cndmask_b32_e32 v10, v14, v13, vcc_lo
	v_add_co_u32 v13, vcc_lo, v9, 1
	v_add_co_ci_u32_e32 v14, vcc_lo, 0, v6, vcc_lo
	v_cmp_ne_u32_e32 vcc_lo, 0, v10
	v_cndmask_b32_e32 v5, v14, v12, vcc_lo
	v_cndmask_b32_e32 v10, v13, v11, vcc_lo
	v_cmp_ne_u32_e32 vcc_lo, 0, v4
	v_cndmask_b32_e32 v6, v6, v5, vcc_lo
	v_cndmask_b32_e32 v5, v9, v10, vcc_lo
.LBB0_4:                                ;   in Loop: Header=BB0_2 Depth=1
	s_andn2_saveexec_b32 s0, s1
	s_cbranch_execz .LBB0_6
; %bb.5:                                ;   in Loop: Header=BB0_2 Depth=1
	v_cvt_f32_u32_e32 v4, s24
	s_sub_i32 s1, 0, s24
	v_rcp_iflag_f32_e32 v4, v4
	v_mul_f32_e32 v4, 0x4f7ffffe, v4
	v_cvt_u32_f32_e32 v4, v4
	v_mul_lo_u32 v5, s1, v4
	v_mul_hi_u32 v5, v4, v5
	v_add_nc_u32_e32 v4, v4, v5
	v_mul_hi_u32 v4, v7, v4
	v_mul_lo_u32 v5, v4, s24
	v_add_nc_u32_e32 v6, 1, v4
	v_sub_nc_u32_e32 v5, v7, v5
	v_subrev_nc_u32_e32 v9, s24, v5
	v_cmp_le_u32_e32 vcc_lo, s24, v5
	v_cndmask_b32_e32 v5, v5, v9, vcc_lo
	v_cndmask_b32_e32 v4, v4, v6, vcc_lo
	v_cmp_le_u32_e32 vcc_lo, s24, v5
	v_add_nc_u32_e32 v6, 1, v4
	v_cndmask_b32_e32 v5, v4, v6, vcc_lo
	v_mov_b32_e32 v6, v3
.LBB0_6:                                ;   in Loop: Header=BB0_2 Depth=1
	s_or_b32 exec_lo, exec_lo, s0
	v_mul_lo_u32 v4, v6, s24
	v_mul_lo_u32 v11, v5, s25
	s_load_dwordx2 s[0:1], s[6:7], 0x0
	v_mad_u64_u32 v[9:10], null, v5, s24, 0
	s_load_dwordx2 s[24:25], s[2:3], 0x0
	s_add_u32 s22, s22, 1
	s_addc_u32 s23, s23, 0
	s_add_u32 s2, s2, 8
	s_addc_u32 s3, s3, 0
	s_add_u32 s6, s6, 8
	v_add3_u32 v4, v10, v11, v4
	v_sub_co_u32 v7, vcc_lo, v7, v9
	s_addc_u32 s7, s7, 0
	s_add_u32 s20, s20, 8
	v_sub_co_ci_u32_e32 v4, vcc_lo, v8, v4, vcc_lo
	s_addc_u32 s21, s21, 0
	s_waitcnt lgkmcnt(0)
	v_mul_lo_u32 v8, s0, v4
	v_mul_lo_u32 v9, s1, v7
	v_mad_u64_u32 v[31:32], null, s0, v7, v[31:32]
	v_mul_lo_u32 v4, s24, v4
	v_mul_lo_u32 v10, s25, v7
	v_mad_u64_u32 v[1:2], null, s24, v7, v[1:2]
	v_cmp_ge_u64_e64 s0, s[22:23], s[14:15]
	v_add3_u32 v32, v9, v32, v8
	v_add3_u32 v2, v10, v2, v4
	s_and_b32 vcc_lo, exec_lo, s0
	s_cbranch_vccnz .LBB0_9
; %bb.7:                                ;   in Loop: Header=BB0_2 Depth=1
	v_mov_b32_e32 v8, v6
	v_mov_b32_e32 v7, v5
	s_branch .LBB0_2
.LBB0_8:
	v_mov_b32_e32 v1, v31
	v_mov_b32_e32 v5, v7
	;; [unrolled: 1-line block ×4, first 2 shown]
.LBB0_9:
	s_load_dwordx2 s[0:1], s[4:5], 0x28
	v_mul_hi_u32 v3, 0x15e75bc, v0
	s_lshl_b64 s[4:5], s[14:15], 3
	v_mov_b32_e32 v8, 0
	v_mov_b32_e32 v7, 0
	s_add_u32 s2, s18, s4
	s_addc_u32 s3, s19, s5
                                        ; implicit-def: $vgpr41
                                        ; implicit-def: $vgpr39
                                        ; implicit-def: $vgpr37
                                        ; implicit-def: $vgpr35
                                        ; implicit-def: $vgpr33
                                        ; implicit-def: $vgpr26
                                        ; implicit-def: $vgpr24
                                        ; implicit-def: $vgpr20
                                        ; implicit-def: $vgpr10
                                        ; implicit-def: $vgpr12
                                        ; implicit-def: $vgpr14
                                        ; implicit-def: $vgpr16
                                        ; implicit-def: $vgpr18
                                        ; implicit-def: $vgpr22
                                        ; implicit-def: $vgpr28
                                        ; implicit-def: $vgpr30
	v_mul_u32_u24_e32 v3, 0xbb, v3
	v_sub_nc_u32_e32 v3, v0, v3
	s_waitcnt lgkmcnt(0)
	v_cmp_gt_u64_e32 vcc_lo, s[0:1], v[5:6]
	v_cmp_gt_u32_e64 s0, 0x6e, v3
	s_and_b32 s1, vcc_lo, s0
	s_and_saveexec_b32 s6, s1
	s_cbranch_execz .LBB0_11
; %bb.10:
	s_add_u32 s4, s16, s4
	s_addc_u32 s5, s17, s5
	v_lshlrev_b64 v[9:10], 3, v[31:32]
	s_load_dwordx2 s[4:5], s[4:5], 0x0
	s_waitcnt lgkmcnt(0)
	v_mul_lo_u32 v0, s5, v5
	v_mul_lo_u32 v4, s4, v6
	v_mad_u64_u32 v[7:8], null, s4, v5, 0
	v_add3_u32 v8, v8, v4, v0
	v_mov_b32_e32 v4, 0
	v_lshlrev_b64 v[7:8], 3, v[7:8]
	v_add_co_u32 v0, s1, s8, v7
	v_add_co_ci_u32_e64 v11, s1, s9, v8, s1
	v_lshlrev_b64 v[7:8], 3, v[3:4]
	v_add_co_u32 v0, s1, v0, v9
	v_add_co_ci_u32_e64 v4, s1, v11, v10, s1
	v_add_co_u32 v9, s1, v0, v7
	v_add_co_ci_u32_e64 v10, s1, v4, v8, s1
	;; [unrolled: 2-line block ×8, first 2 shown]
	s_clause 0x10
	global_load_dwordx2 v[7:8], v[9:10], off
	global_load_dwordx2 v[40:41], v[9:10], off offset:880
	global_load_dwordx2 v[38:39], v[9:10], off offset:1760
	;; [unrolled: 1-line block ×16, first 2 shown]
.LBB0_11:
	s_or_b32 exec_lo, exec_lo, s6
	s_waitcnt vmcnt(0)
	v_sub_f32_e32 v0, v41, v10
	v_add_f32_e32 v44, v40, v9
	v_sub_f32_e32 v4, v39, v12
	v_add_f32_e32 v47, v38, v11
	v_sub_f32_e32 v31, v37, v14
	v_mul_f32_e32 v62, 0xbf06c442, v0
	v_add_f32_e32 v48, v36, v13
	v_mul_f32_e32 v56, 0x3f65296c, v4
	v_sub_f32_e32 v42, v35, v16
	v_mul_f32_e32 v63, 0xbf7ee86f, v31
	v_fma_f32 v43, 0xbf59a7d5, v44, -v62
	v_add_f32_e32 v51, v34, v15
	v_fma_f32 v45, 0x3ee437d1, v47, -v56
	v_mul_f32_e32 v57, 0x3f4c4adb, v42
	v_fma_f32 v49, 0x3dbcf732, v48, -v63
	v_add_f32_e32 v46, v7, v43
	v_sub_f32_e32 v43, v33, v18
	v_add_f32_e32 v52, v32, v17
	v_fma_f32 v50, 0xbf1a4643, v51, -v57
	v_add_f32_e32 v53, v25, v21
	v_add_f32_e32 v46, v46, v45
	v_sub_f32_e32 v45, v26, v22
	v_mul_f32_e32 v59, 0xbeb8f4ab, v43
	v_add_f32_e32 v54, v23, v27
	v_add_f32_e32 v49, v46, v49
	v_sub_f32_e32 v46, v24, v28
	v_mul_f32_e32 v60, 0xbe3c28d5, v45
	v_fma_f32 v55, 0x3f6eb680, v52, -v59
	v_add_f32_e32 v49, v49, v50
	v_mul_f32_e32 v58, 0x3f2c7751, v46
	v_fma_f32 v50, 0xbf7ba420, v53, -v60
	v_add_f32_e32 v61, v49, v55
	v_sub_f32_e32 v49, v20, v30
	v_add_f32_e32 v55, v19, v29
	v_fma_f32 v64, 0x3f3d2fb0, v54, -v58
	v_add_f32_e32 v50, v61, v50
	v_mul_f32_e32 v61, 0xbf763a35, v49
	v_add_f32_e32 v50, v50, v64
	v_fma_f32 v64, 0xbe8c1d8e, v55, -v61
	v_add_f32_e32 v50, v50, v64
	s_and_saveexec_b32 s1, s0
	s_cbranch_execz .LBB0_13
; %bb.12:
	v_mul_f32_e32 v64, 0xbf7ba420, v44
	v_mul_f32_e32 v68, 0x3f6eb680, v47
	;; [unrolled: 1-line block ×5, first 2 shown]
	v_fmamk_f32 v69, v0, 0x3e3c28d5, v64
	v_fmamk_f32 v73, v4, 0xbeb8f4ab, v68
	;; [unrolled: 1-line block ×3, first 2 shown]
	v_fmac_f32_e32 v64, 0xbe3c28d5, v0
	v_fmamk_f32 v79, v42, 0xbf2c7751, v75
	v_add_f32_e32 v69, v7, v69
	v_mul_f32_e32 v78, 0x3ee437d1, v53
	v_fmac_f32_e32 v68, 0x3eb8f4ab, v4
	v_fmamk_f32 v80, v43, 0x3f4c4adb, v76
	v_add_f32_e32 v64, v7, v64
	v_add_f32_e32 v69, v69, v73
	v_mul_f32_e32 v65, 0xbf59a7d5, v44
	v_fmac_f32_e32 v72, 0xbf06c442, v31
	v_fmamk_f32 v81, v45, 0xbf65296c, v78
	v_add_f32_e32 v64, v64, v68
	v_add_f32_e32 v69, v69, v77
	v_mul_f32_e32 v77, 0xbe8c1d8e, v54
	v_mul_f32_e32 v66, 0x3ee437d1, v47
	v_add_f32_e32 v62, v62, v65
	v_fmac_f32_e32 v75, 0x3f2c7751, v42
	v_add_f32_e32 v69, v69, v79
	v_fmamk_f32 v65, v46, 0x3f763a35, v77
	v_add_f32_e32 v64, v64, v72
	v_mul_f32_e32 v67, 0x3dbcf732, v48
	v_add_f32_e32 v62, v7, v62
	v_add_f32_e32 v68, v69, v80
	v_mul_f32_e32 v69, 0x3dbcf732, v55
	v_add_f32_e32 v56, v56, v66
	v_add_f32_e32 v64, v64, v75
	v_fmac_f32_e32 v76, 0xbf4c4adb, v43
	v_add_f32_e32 v68, v68, v81
	v_fmamk_f32 v66, v49, 0xbf7ee86f, v69
	v_mul_f32_e32 v70, 0xbf1a4643, v51
	v_add_f32_e32 v62, v62, v56
	v_add_f32_e32 v63, v63, v67
	;; [unrolled: 1-line block ×4, first 2 shown]
	v_fmac_f32_e32 v78, 0x3f65296c, v45
	v_mul_f32_e32 v71, 0x3f6eb680, v52
	v_add_f32_e32 v62, v62, v63
	v_add_f32_e32 v56, v65, v66
	v_mul_f32_e32 v65, 0xbf1a4643, v44
	v_add_f32_e32 v57, v57, v70
	v_add_f32_e32 v63, v64, v78
	v_fmac_f32_e32 v77, 0xbf763a35, v46
	v_mul_f32_e32 v66, 0xbe8c1d8e, v47
	v_fmamk_f32 v64, v0, 0x3f4c4adb, v65
	v_mul_f32_e32 v74, 0xbf7ba420, v53
	v_add_f32_e32 v57, v62, v57
	v_add_f32_e32 v59, v59, v71
	;; [unrolled: 1-line block ×4, first 2 shown]
	v_fmamk_f32 v64, v4, 0xbf763a35, v66
	v_mul_f32_e32 v67, 0x3f6eb680, v48
	v_mul_f32_e32 v73, 0x3f3d2fb0, v54
	v_add_f32_e32 v57, v57, v59
	v_add_f32_e32 v59, v60, v74
	v_fmac_f32_e32 v69, 0x3f7ee86f, v49
	v_add_f32_e32 v60, v63, v64
	v_fmamk_f32 v63, v31, 0x3eb8f4ab, v67
	v_mul_f32_e32 v64, 0xbf59a7d5, v51
	v_mul_f32_e32 v79, 0xbe8c1d8e, v55
	v_add_f32_e32 v57, v57, v59
	v_add_f32_e32 v58, v58, v73
	;; [unrolled: 1-line block ×4, first 2 shown]
	v_fmamk_f32 v62, v42, 0x3f06c442, v64
	v_mul_f32_e32 v63, 0x3dbcf732, v52
	v_add_f32_e32 v57, v57, v58
	v_add_f32_e32 v58, v61, v79
	v_fmac_f32_e32 v65, 0xbf4c4adb, v0
	v_add_f32_e32 v60, v60, v62
	v_fmamk_f32 v61, v43, 0xbf7ee86f, v63
	v_mul_f32_e32 v62, 0x3f3d2fb0, v53
	v_add_f32_e32 v57, v57, v58
	v_add_f32_e32 v58, v7, v65
	v_fmac_f32_e32 v66, 0x3f763a35, v4
	v_add_f32_e32 v60, v60, v61
	v_fmamk_f32 v61, v45, 0x3f2c7751, v62
	v_mul_f32_e32 v65, 0xbe8c1d8e, v44
	v_fmac_f32_e32 v67, 0xbeb8f4ab, v31
	v_add_f32_e32 v58, v58, v66
	v_mul_f32_e32 v66, 0xbf59a7d5, v47
	v_add_f32_e32 v60, v60, v61
	v_fmamk_f32 v61, v0, 0x3f763a35, v65
	v_fmac_f32_e32 v64, 0xbf06c442, v42
	v_add_f32_e32 v58, v58, v67
	v_fmamk_f32 v67, v4, 0xbf06c442, v66
	v_mul_f32_e32 v70, 0x3f3d2fb0, v48
	v_add_f32_e32 v61, v7, v61
	v_mul_f32_e32 v68, 0xbf7ba420, v54
	v_add_f32_e32 v58, v58, v64
	v_fmac_f32_e32 v63, 0x3f7ee86f, v43
	v_fmamk_f32 v64, v31, 0xbf2c7751, v70
	v_add_f32_e32 v61, v61, v67
	v_mul_f32_e32 v67, 0x3ee437d1, v51
	v_fmamk_f32 v69, v46, 0x3e3c28d5, v68
	v_add_f32_e32 v58, v58, v63
	v_fmac_f32_e32 v62, 0xbf2c7751, v45
	v_add_f32_e32 v61, v61, v64
	v_fmamk_f32 v63, v42, 0x3f65296c, v67
	v_mul_f32_e32 v64, 0xbf7ba420, v52
	v_add_f32_e32 v60, v60, v69
	v_mul_f32_e32 v69, 0x3ee437d1, v55
	v_add_f32_e32 v58, v58, v62
	v_fmac_f32_e32 v68, 0xbe3c28d5, v46
	v_add_f32_e32 v61, v61, v63
	v_fmamk_f32 v62, v43, 0x3e3c28d5, v64
	v_mul_f32_e32 v63, 0x3dbcf732, v53
	v_fmamk_f32 v71, v49, 0xbf65296c, v69
	v_fmac_f32_e32 v65, 0xbf763a35, v0
	v_add_f32_e32 v58, v58, v68
	v_add_f32_e32 v61, v61, v62
	v_fmamk_f32 v62, v45, 0xbf7ee86f, v63
	v_mul_f32_e32 v68, 0x3f6eb680, v54
	v_add_f32_e32 v60, v60, v71
	v_add_f32_e32 v65, v7, v65
	v_fmac_f32_e32 v66, 0x3f06c442, v4
	v_add_f32_e32 v61, v61, v62
	v_fmamk_f32 v62, v46, 0x3eb8f4ab, v68
	v_mul_f32_e32 v71, 0x3dbcf732, v44
	v_fmac_f32_e32 v69, 0x3f65296c, v49
	v_add_f32_e32 v65, v65, v66
	v_fmac_f32_e32 v70, 0x3f2c7751, v31
	v_add_f32_e32 v61, v61, v62
	v_fmamk_f32 v62, v0, 0x3f7ee86f, v71
	v_mul_f32_e32 v66, 0xbf7ba420, v47
	v_add_f32_e32 v58, v58, v69
	v_add_f32_e32 v65, v65, v70
	v_fmac_f32_e32 v67, 0xbf65296c, v42
	v_mul_f32_e32 v69, 0xbf1a4643, v55
	v_add_f32_e32 v62, v7, v62
	v_fmamk_f32 v70, v4, 0x3e3c28d5, v66
	v_mul_f32_e32 v72, 0xbe8c1d8e, v48
	v_add_f32_e32 v65, v65, v67
	v_fmac_f32_e32 v64, 0xbe3c28d5, v43
	v_fmamk_f32 v67, v49, 0x3f4c4adb, v69
	v_add_f32_e32 v62, v62, v70
	v_fmamk_f32 v70, v31, 0xbf763a35, v72
	v_mul_f32_e32 v73, 0x3f6eb680, v51
	v_add_f32_e32 v64, v65, v64
	v_fmac_f32_e32 v63, 0x3f7ee86f, v45
	v_add_f32_e32 v61, v61, v67
	v_add_f32_e32 v62, v62, v70
	v_fmamk_f32 v65, v42, 0xbeb8f4ab, v73
	v_mul_f32_e32 v67, 0x3ee437d1, v52
	v_add_f32_e32 v63, v64, v63
	v_fmac_f32_e32 v68, 0xbeb8f4ab, v46
	v_fmac_f32_e32 v71, 0xbf7ee86f, v0
	v_add_f32_e32 v62, v62, v65
	v_fmamk_f32 v64, v43, 0x3f65296c, v67
	v_mul_f32_e32 v65, 0xbf59a7d5, v53
	v_add_f32_e32 v63, v63, v68
	v_add_f32_e32 v68, v7, v71
	v_fmac_f32_e32 v66, 0xbe3c28d5, v4
	v_add_f32_e32 v62, v62, v64
	v_fmamk_f32 v64, v45, 0x3f06c442, v65
	v_mul_f32_e32 v70, 0xbf1a4643, v54
	v_fmac_f32_e32 v69, 0xbf4c4adb, v49
	v_add_f32_e32 v66, v68, v66
	v_fmac_f32_e32 v72, 0x3f763a35, v31
	v_add_f32_e32 v62, v62, v64
	v_fmamk_f32 v64, v46, 0xbf4c4adb, v70
	v_mul_f32_e32 v68, 0x3ee437d1, v44
	v_add_f32_e32 v63, v63, v69
	v_add_f32_e32 v66, v66, v72
	v_fmac_f32_e32 v73, 0x3eb8f4ab, v42
	v_add_f32_e32 v62, v62, v64
	v_fmamk_f32 v64, v0, 0x3f65296c, v68
	v_mul_f32_e32 v69, 0xbf1a4643, v47
	v_fmac_f32_e32 v67, 0xbf65296c, v43
	v_add_f32_e32 v66, v66, v73
	v_mul_f32_e32 v73, 0xbf7ba420, v48
	v_add_f32_e32 v64, v7, v64
	v_fmamk_f32 v72, v4, 0x3f4c4adb, v69
	v_mul_f32_e32 v71, 0x3f3d2fb0, v55
	v_add_f32_e32 v66, v66, v67
	v_fmac_f32_e32 v65, 0xbf06c442, v45
	v_fmamk_f32 v67, v31, 0xbe3c28d5, v73
	v_add_f32_e32 v64, v64, v72
	v_mul_f32_e32 v72, 0xbe8c1d8e, v51
	v_fmamk_f32 v74, v49, 0xbf2c7751, v71
	v_fmac_f32_e32 v68, 0xbf65296c, v0
	v_add_f32_e32 v65, v66, v65
	v_add_f32_e32 v64, v64, v67
	v_fmamk_f32 v66, v42, 0xbf763a35, v72
	v_mul_f32_e32 v67, 0x3f3d2fb0, v52
	v_add_f32_e32 v62, v62, v74
	v_add_f32_e32 v68, v7, v68
	v_fmac_f32_e32 v69, 0xbf4c4adb, v4
	v_add_f32_e32 v64, v64, v66
	v_fmamk_f32 v66, v43, 0xbf2c7751, v67
	v_mul_f32_e32 v74, 0x3f6eb680, v53
	v_fmac_f32_e32 v70, 0x3f4c4adb, v46
	v_add_f32_e32 v68, v68, v69
	v_fmac_f32_e32 v73, 0x3e3c28d5, v31
	v_add_f32_e32 v64, v64, v66
	v_fmamk_f32 v66, v45, 0x3eb8f4ab, v74
	v_mul_f32_e32 v69, 0x3dbcf732, v54
	v_add_f32_e32 v65, v65, v70
	v_add_f32_e32 v68, v68, v73
	v_fmac_f32_e32 v72, 0x3f763a35, v42
	v_fmac_f32_e32 v71, 0x3f2c7751, v49
	v_add_f32_e32 v64, v64, v66
	v_fmamk_f32 v66, v46, 0x3f7ee86f, v69
	v_mul_f32_e32 v70, 0x3f3d2fb0, v44
	v_add_f32_e32 v68, v68, v72
	v_fmac_f32_e32 v67, 0x3f2c7751, v43
	v_add_f32_e32 v65, v65, v71
	v_add_f32_e32 v64, v64, v66
	v_fmamk_f32 v66, v0, 0x3f2c7751, v70
	v_mul_f32_e32 v71, 0x3dbcf732, v47
	v_add_f32_e32 v67, v68, v67
	v_fmac_f32_e32 v74, 0xbeb8f4ab, v45
	v_mul_f32_e32 v73, 0xbf1a4643, v48
	v_add_f32_e32 v66, v7, v66
	v_fmamk_f32 v72, v4, 0x3f7ee86f, v71
	v_mul_f32_e32 v68, 0xbf59a7d5, v55
	v_add_f32_e32 v67, v67, v74
	v_fmac_f32_e32 v69, 0xbf7ee86f, v46
	v_mul_f32_e32 v75, 0xbf7ba420, v51
	v_add_f32_e32 v66, v66, v72
	v_fmamk_f32 v72, v31, 0x3f4c4adb, v73
	v_fmamk_f32 v74, v49, 0x3f06c442, v68
	v_add_f32_e32 v67, v67, v69
	v_fmac_f32_e32 v68, 0xbf06c442, v49
	v_fmac_f32_e32 v70, 0xbf2c7751, v0
	v_add_f32_e32 v66, v66, v72
	v_fmamk_f32 v69, v42, 0x3e3c28d5, v75
	v_mul_f32_e32 v72, 0xbf59a7d5, v52
	v_add_f32_e32 v67, v67, v68
	v_add_f32_e32 v68, v7, v70
	;; [unrolled: 1-line block ×4, first 2 shown]
	v_fmamk_f32 v69, v43, 0xbf06c442, v72
	v_fmac_f32_e32 v71, 0xbf7ee86f, v4
	v_fmac_f32_e32 v73, 0xbf4c4adb, v31
	;; [unrolled: 1-line block ×3, first 2 shown]
	v_mul_f32_e32 v76, 0xbe8c1d8e, v53
	v_add_f32_e32 v66, v66, v69
	v_add_f32_e32 v69, v70, v38
	;; [unrolled: 1-line block ×3, first 2 shown]
	v_fmac_f32_e32 v72, 0x3f06c442, v43
	v_mul_f32_e32 v44, 0x3f6eb680, v44
	v_fmamk_f32 v70, v45, 0xbf763a35, v76
	v_add_f32_e32 v69, v69, v36
	v_add_f32_e32 v68, v68, v73
	v_fmac_f32_e32 v76, 0x3f763a35, v45
	v_mul_f32_e32 v47, 0x3f3d2fb0, v47
	v_mul_f32_e32 v48, 0x3ee437d1, v48
	v_add_f32_e32 v69, v69, v34
	v_add_f32_e32 v68, v68, v75
	v_mul_f32_e32 v51, 0x3dbcf732, v51
	v_mul_f32_e32 v52, 0xbe8c1d8e, v52
	;; [unrolled: 1-line block ×3, first 2 shown]
	v_add_f32_e32 v69, v69, v32
	v_add_f32_e32 v68, v68, v72
	v_fmamk_f32 v72, v0, 0x3eb8f4ab, v44
	v_fmac_f32_e32 v44, 0xbeb8f4ab, v0
	v_add_f32_e32 v66, v66, v70
	v_add_f32_e32 v69, v69, v25
	;; [unrolled: 1-line block ×3, first 2 shown]
	v_fmamk_f32 v68, v4, 0x3f2c7751, v47
	v_add_f32_e32 v44, v7, v44
	v_fmac_f32_e32 v47, 0xbf2c7751, v4
	v_add_f32_e32 v69, v69, v23
	v_add_f32_e32 v4, v7, v72
	v_fmamk_f32 v7, v31, 0x3f65296c, v48
	v_fmac_f32_e32 v48, 0xbf65296c, v31
	v_add_f32_e32 v44, v44, v47
	v_add_f32_e32 v69, v69, v19
	;; [unrolled: 1-line block ×3, first 2 shown]
	v_fmamk_f32 v47, v42, 0x3f7ee86f, v51
	v_fmac_f32_e32 v51, 0xbf7ee86f, v42
	v_add_f32_e32 v44, v44, v48
	v_add_f32_e32 v31, v69, v29
	;; [unrolled: 1-line block ×3, first 2 shown]
	v_fmamk_f32 v7, v43, 0x3f763a35, v52
	v_mul_f32_e32 v42, 0xbf1a4643, v53
	v_add_f32_e32 v44, v44, v51
	v_add_f32_e32 v31, v27, v31
	v_fmac_f32_e32 v52, 0xbf763a35, v43
	v_add_f32_e32 v4, v4, v47
	v_fmamk_f32 v43, v45, 0x3f4c4adb, v42
	v_mul_f32_e32 v47, 0xbf59a7d5, v54
	v_add_f32_e32 v31, v21, v31
	v_add_f32_e32 v44, v44, v52
	v_fmac_f32_e32 v42, 0xbf4c4adb, v45
	v_add_f32_e32 v4, v4, v7
	v_fmamk_f32 v7, v46, 0x3f06c442, v47
	v_add_f32_e32 v31, v17, v31
	v_mul_f32_e32 v45, 0xbf7ba420, v55
	v_add_f32_e32 v42, v44, v42
	v_fmac_f32_e32 v47, 0xbf06c442, v46
	v_fmamk_f32 v70, v46, 0xbf65296c, v71
	v_add_f32_e32 v31, v15, v31
	v_mul_f32_e32 v73, 0x3f6eb680, v55
	v_fmac_f32_e32 v71, 0x3f65296c, v46
	v_add_f32_e32 v4, v4, v43
	v_fmamk_f32 v43, v49, 0x3e3c28d5, v45
	v_add_f32_e32 v31, v13, v31
	v_add_f32_e32 v42, v42, v47
	v_fmac_f32_e32 v45, 0xbe3c28d5, v49
	v_add_f32_e32 v66, v66, v70
	v_fmamk_f32 v70, v49, 0xbeb8f4ab, v73
	v_add_f32_e32 v31, v11, v31
	v_add_f32_e32 v0, v0, v71
	v_fmac_f32_e32 v73, 0x3eb8f4ab, v49
	v_add_f32_e32 v4, v4, v7
	v_add_f32_e32 v7, v42, v45
	;; [unrolled: 1-line block ×3, first 2 shown]
	v_mad_u32_u24 v42, 0x44, v3, 0
	v_add_f32_e32 v0, v0, v73
	v_add_f32_e32 v44, v64, v74
	;; [unrolled: 1-line block ×4, first 2 shown]
	ds_write2_b32 v42, v31, v7 offset1:1
	ds_write2_b32 v42, v0, v67 offset0:2 offset1:3
	ds_write2_b32 v42, v65, v63 offset0:4 offset1:5
	;; [unrolled: 1-line block ×7, first 2 shown]
	ds_write_b32 v42, v4 offset:64
.LBB0_13:
	s_or_b32 exec_lo, exec_lo, s1
	v_sub_f32_e32 v64, v40, v9
	v_add_f32_e32 v62, v41, v10
	v_sub_f32_e32 v60, v38, v11
	v_add_f32_e32 v59, v39, v12
	v_sub_f32_e32 v57, v36, v13
	v_mul_f32_e32 v63, 0xbf06c442, v64
	v_add_f32_e32 v56, v37, v14
	v_mul_f32_e32 v61, 0x3f65296c, v60
	v_sub_f32_e32 v54, v34, v15
	v_mul_f32_e32 v58, 0xbf7ee86f, v57
	v_fmamk_f32 v0, v62, 0xbf59a7d5, v63
	v_add_f32_e32 v53, v35, v16
	v_fmamk_f32 v4, v59, 0x3ee437d1, v61
	v_mul_f32_e32 v55, 0x3f4c4adb, v54
	v_fmamk_f32 v7, v56, 0x3dbcf732, v58
	v_add_f32_e32 v0, v8, v0
	v_sub_f32_e32 v51, v32, v17
	v_add_f32_e32 v40, v33, v18
	v_sub_f32_e32 v36, v25, v21
	v_add_f32_e32 v34, v26, v22
	v_add_f32_e32 v0, v0, v4
	v_fmamk_f32 v4, v53, 0xbf1a4643, v55
	v_mul_f32_e32 v52, 0xbeb8f4ab, v51
	v_sub_f32_e32 v23, v23, v27
	v_mul_f32_e32 v38, 0xbe3c28d5, v36
	v_add_f32_e32 v0, v0, v7
	s_waitcnt lgkmcnt(0)
	v_fmamk_f32 v7, v40, 0x3f6eb680, v52
	s_barrier
	buffer_gl0_inv
	v_add_f32_e32 v4, v0, v4
	v_lshl_add_u32 v0, v3, 2, 0
	v_add_f32_e32 v21, v24, v28
	v_sub_f32_e32 v13, v19, v29
	v_mul_f32_e32 v25, 0x3f2c7751, v23
	v_add_f32_e32 v27, v4, v7
	v_add_nc_u32_e32 v9, 0x500, v0
	v_add_nc_u32_e32 v11, 0xb00, v0
	;; [unrolled: 1-line block ×4, first 2 shown]
	ds_read2_b32 v[31:32], v0 offset1:187
	ds_read2_b32 v[48:49], v9 offset0:54 offset1:241
	ds_read2_b32 v[46:47], v11 offset0:44 offset1:231
	;; [unrolled: 1-line block ×4, first 2 shown]
	v_fmamk_f32 v19, v34, 0xbf7ba420, v38
	v_add_f32_e32 v15, v20, v30
	v_mul_f32_e32 v17, 0xbf763a35, v13
	v_fmamk_f32 v29, v21, 0x3f3d2fb0, v25
	s_waitcnt lgkmcnt(0)
	v_add_f32_e32 v19, v27, v19
	s_barrier
	v_fmamk_f32 v27, v15, 0xbe8c1d8e, v17
	buffer_gl0_inv
	v_add_f32_e32 v19, v19, v29
	v_add_f32_e32 v27, v19, v27
	s_and_saveexec_b32 s1, s0
	s_cbranch_execz .LBB0_15
; %bb.14:
	v_add_f32_e32 v19, v8, v41
	v_mul_f32_e32 v70, 0xbf2c7751, v64
	v_mul_f32_e32 v71, 0xbf65296c, v64
	;; [unrolled: 1-line block ×4, first 2 shown]
	v_add_f32_e32 v39, v19, v39
	v_mul_f32_e32 v74, 0xbf2c7751, v60
	v_mul_f32_e32 v41, 0xbf59a7d5, v62
	v_fma_f32 v78, 0x3ee437d1, v62, -v71
	v_fmac_f32_e32 v71, 0x3ee437d1, v62
	v_add_f32_e32 v37, v39, v37
	v_mul_f32_e32 v39, 0xbeb8f4ab, v64
	v_mul_f32_e32 v65, 0x3ee437d1, v59
	v_sub_f32_e32 v41, v41, v63
	v_mul_f32_e32 v75, 0xbf4c4adb, v60
	v_add_f32_e32 v35, v37, v35
	v_mul_f32_e32 v37, 0xbf763a35, v64
	v_mul_f32_e32 v64, 0xbe3c28d5, v64
	v_fma_f32 v77, 0x3f6eb680, v62, -v39
	v_fmac_f32_e32 v39, 0x3f6eb680, v62
	v_add_f32_e32 v33, v35, v33
	v_fma_f32 v79, 0xbe8c1d8e, v62, -v37
	v_fmac_f32_e32 v37, 0xbe8c1d8e, v62
	v_mul_f32_e32 v35, 0xbf7ee86f, v60
	v_mul_f32_e32 v76, 0xbe3c28d5, v60
	v_add_f32_e32 v26, v33, v26
	v_fma_f32 v33, 0x3f3d2fb0, v62, -v70
	v_fmac_f32_e32 v70, 0x3f3d2fb0, v62
	v_add_f32_e32 v37, v8, v37
	v_fma_f32 v63, 0xbf1a4643, v59, -v75
	v_add_f32_e32 v24, v26, v24
	v_fma_f32 v26, 0x3dbcf732, v62, -v72
	v_fmac_f32_e32 v72, 0x3dbcf732, v62
	v_add_f32_e32 v39, v8, v39
	v_add_f32_e32 v33, v8, v33
	;; [unrolled: 1-line block ×3, first 2 shown]
	v_fma_f32 v24, 0xbf1a4643, v62, -v73
	v_fmac_f32_e32 v73, 0xbf1a4643, v62
	v_add_f32_e32 v70, v8, v70
	v_add_f32_e32 v71, v8, v71
	;; [unrolled: 1-line block ×3, first 2 shown]
	v_fma_f32 v30, 0xbf7ba420, v62, -v64
	v_fmac_f32_e32 v64, 0xbf7ba420, v62
	v_fma_f32 v62, 0x3f3d2fb0, v59, -v74
	v_add_f32_e32 v26, v8, v26
	v_add_f32_e32 v20, v28, v20
	v_fma_f32 v28, 0x3dbcf732, v59, -v35
	v_fmac_f32_e32 v35, 0x3dbcf732, v59
	v_add_f32_e32 v72, v8, v72
	v_add_f32_e32 v24, v8, v24
	;; [unrolled: 1-line block ×6, first 2 shown]
	v_fmac_f32_e32 v74, 0x3f3d2fb0, v59
	v_add_f32_e32 v18, v18, v20
	v_add_f32_e32 v22, v22, v62
	;; [unrolled: 1-line block ×3, first 2 shown]
	v_fmac_f32_e32 v75, 0xbf1a4643, v59
	v_add_f32_e32 v28, v33, v28
	v_add_f32_e32 v16, v16, v18
	;; [unrolled: 1-line block ×5, first 2 shown]
	v_fma_f32 v35, 0xbf7ba420, v59, -v76
	v_add_f32_e32 v14, v14, v16
	v_add_f32_e32 v16, v8, v41
	v_mul_f32_e32 v41, 0x3f763a35, v60
	v_add_f32_e32 v8, v8, v64
	v_fmac_f32_e32 v76, 0xbf7ba420, v59
	v_add_f32_e32 v12, v12, v14
	v_add_f32_e32 v14, v39, v74
	v_fma_f32 v63, 0xbe8c1d8e, v59, -v41
	v_fmac_f32_e32 v41, 0xbe8c1d8e, v59
	v_add_f32_e32 v39, v71, v75
	v_add_f32_e32 v10, v10, v12
	v_mul_f32_e32 v12, 0x3f06c442, v60
	v_mul_f32_e32 v60, 0x3eb8f4ab, v60
	v_mul_f32_e32 v66, 0x3dbcf732, v56
	v_add_f32_e32 v26, v26, v35
	v_add_f32_e32 v24, v24, v63
	v_fma_f32 v62, 0xbf59a7d5, v59, -v12
	v_fmac_f32_e32 v12, 0xbf59a7d5, v59
	v_mul_f32_e32 v67, 0xbf1a4643, v53
	v_mul_f32_e32 v68, 0x3f6eb680, v40
	v_add_f32_e32 v41, v73, v41
	v_add_f32_e32 v18, v18, v62
	;; [unrolled: 1-line block ×3, first 2 shown]
	v_sub_f32_e32 v37, v65, v61
	v_fma_f32 v61, 0x3f6eb680, v59, -v60
	v_mul_f32_e32 v62, 0xbf65296c, v57
	v_fmac_f32_e32 v60, 0x3f6eb680, v59
	v_mul_f32_e32 v69, 0xbf7ba420, v34
	v_add_f32_e32 v16, v16, v37
	v_mul_f32_e32 v37, 0xbf4c4adb, v57
	v_add_f32_e32 v30, v30, v61
	v_fma_f32 v59, 0x3ee437d1, v56, -v62
	v_add_f32_e32 v8, v8, v60
	v_mul_f32_e32 v60, 0x3e3c28d5, v57
	v_fma_f32 v61, 0xbf1a4643, v56, -v37
	v_fmac_f32_e32 v37, 0xbf1a4643, v56
	v_fmac_f32_e32 v62, 0x3ee437d1, v56
	v_add_f32_e32 v22, v22, v59
	v_fma_f32 v59, 0xbf7ba420, v56, -v60
	v_add_f32_e32 v28, v28, v61
	v_mul_f32_e32 v61, 0x3f763a35, v57
	v_add_f32_e32 v33, v33, v37
	v_fmac_f32_e32 v60, 0xbf7ba420, v56
	v_mul_f32_e32 v37, 0x3f2c7751, v57
	v_add_f32_e32 v14, v14, v62
	v_add_f32_e32 v20, v20, v59
	v_fma_f32 v59, 0xbe8c1d8e, v56, -v61
	v_add_f32_e32 v39, v39, v60
	v_mul_f32_e32 v60, 0xbeb8f4ab, v57
	v_fma_f32 v62, 0x3f3d2fb0, v56, -v37
	v_fmac_f32_e32 v37, 0x3f3d2fb0, v56
	v_add_f32_e32 v26, v26, v59
	v_mul_f32_e32 v57, 0xbf06c442, v57
	v_fma_f32 v59, 0x3f6eb680, v56, -v60
	v_fmac_f32_e32 v61, 0xbe8c1d8e, v56
	v_add_f32_e32 v12, v12, v37
	v_sub_f32_e32 v37, v66, v58
	v_fma_f32 v58, 0xbf59a7d5, v56, -v57
	v_add_f32_e32 v24, v24, v59
	v_mul_f32_e32 v59, 0xbf7ee86f, v54
	v_fmac_f32_e32 v57, 0xbf59a7d5, v56
	v_add_f32_e32 v16, v16, v37
	v_mul_f32_e32 v37, 0xbe3c28d5, v54
	v_fmac_f32_e32 v60, 0x3f6eb680, v56
	v_add_f32_e32 v30, v30, v58
	v_fma_f32 v56, 0x3dbcf732, v53, -v59
	v_add_f32_e32 v8, v8, v57
	v_mul_f32_e32 v57, 0x3f763a35, v54
	v_fma_f32 v58, 0xbf7ba420, v53, -v37
	v_fmac_f32_e32 v37, 0xbf7ba420, v53
	v_fmac_f32_e32 v59, 0x3dbcf732, v53
	v_add_f32_e32 v22, v22, v56
	v_fma_f32 v56, 0xbe8c1d8e, v53, -v57
	v_add_f32_e32 v28, v28, v58
	v_mul_f32_e32 v58, 0x3eb8f4ab, v54
	v_add_f32_e32 v33, v33, v37
	v_fmac_f32_e32 v57, 0xbe8c1d8e, v53
	v_mul_f32_e32 v37, 0xbf65296c, v54
	v_add_f32_e32 v14, v14, v59
	v_add_f32_e32 v20, v20, v56
	v_fma_f32 v56, 0x3f6eb680, v53, -v58
	v_add_f32_e32 v39, v39, v57
	v_mul_f32_e32 v57, 0xbf06c442, v54
	v_fma_f32 v59, 0x3ee437d1, v53, -v37
	v_fmac_f32_e32 v37, 0x3ee437d1, v53
	v_add_f32_e32 v26, v26, v56
	v_mul_f32_e32 v54, 0x3f2c7751, v54
	v_fma_f32 v56, 0xbf59a7d5, v53, -v57
	v_fmac_f32_e32 v58, 0x3f6eb680, v53
	v_add_f32_e32 v12, v12, v37
	v_sub_f32_e32 v37, v67, v55
	v_fma_f32 v55, 0x3f3d2fb0, v53, -v54
	v_add_f32_e32 v24, v24, v56
	v_mul_f32_e32 v56, 0xbf763a35, v51
	v_fmac_f32_e32 v54, 0x3f3d2fb0, v53
	v_add_f32_e32 v16, v16, v37
	v_mul_f32_e32 v37, 0x3f06c442, v51
	v_fmac_f32_e32 v57, 0xbf59a7d5, v53
	;; [unrolled: 34-line block ×3, first 2 shown]
	v_add_f32_e32 v30, v30, v52
	v_fma_f32 v40, 0xbf1a4643, v34, -v53
	v_add_f32_e32 v8, v8, v51
	v_mul_f32_e32 v51, 0xbeb8f4ab, v36
	v_fma_f32 v52, 0xbe8c1d8e, v34, -v37
	v_add_f32_e32 v41, v41, v60
	v_add_f32_e32 v22, v22, v40
	v_fmac_f32_e32 v37, 0xbe8c1d8e, v34
	v_fma_f32 v40, 0x3f6eb680, v34, -v51
	v_add_f32_e32 v28, v28, v52
	v_mul_f32_e32 v52, 0xbf06c442, v36
	v_fmac_f32_e32 v51, 0x3f6eb680, v34
	v_add_f32_e32 v41, v41, v57
	v_fmac_f32_e32 v53, 0xbf1a4643, v34
	v_add_f32_e32 v33, v33, v37
	v_add_f32_e32 v20, v20, v40
	v_mul_f32_e32 v37, 0x3f7ee86f, v36
	v_fma_f32 v40, 0xbf59a7d5, v34, -v52
	v_add_f32_e32 v39, v39, v51
	v_mul_f32_e32 v51, 0xbf2c7751, v36
	v_add_f32_e32 v41, v41, v54
	v_add_f32_e32 v14, v14, v53
	v_fma_f32 v53, 0x3dbcf732, v34, -v37
	v_add_f32_e32 v26, v26, v40
	v_fmac_f32_e32 v37, 0x3dbcf732, v34
	v_fma_f32 v40, 0x3f3d2fb0, v34, -v51
	v_fmac_f32_e32 v51, 0x3f3d2fb0, v34
	v_mul_f32_e32 v36, 0x3f65296c, v36
	v_fmac_f32_e32 v52, 0xbf59a7d5, v34
	v_add_f32_e32 v12, v12, v37
	v_add_f32_e32 v24, v24, v40
	v_sub_f32_e32 v37, v69, v38
	v_add_f32_e32 v38, v41, v51
	v_fma_f32 v40, 0x3ee437d1, v34, -v36
	v_mul_f32_e32 v41, 0xbf06c442, v23
	v_fmac_f32_e32 v36, 0x3ee437d1, v34
	v_mul_f32_e32 v34, 0x3f65296c, v23
	v_add_f32_e32 v16, v16, v37
	v_add_f32_e32 v30, v30, v40
	v_fma_f32 v37, 0xbf59a7d5, v21, -v41
	v_add_f32_e32 v8, v8, v36
	v_fma_f32 v36, 0x3ee437d1, v21, -v34
	v_mul_f32_e32 v40, 0xbf7ee86f, v23
	v_fmac_f32_e32 v41, 0xbf59a7d5, v21
	v_add_f32_e32 v22, v22, v37
	v_mul_f32_e32 v37, 0x3f4c4adb, v23
	v_add_f32_e32 v28, v28, v36
	v_fma_f32 v36, 0x3dbcf732, v21, -v40
	v_fmac_f32_e32 v34, 0x3ee437d1, v21
	v_add_f32_e32 v14, v14, v41
	v_mul_f32_e32 v41, 0xbe3c28d5, v23
	v_mul_f32_e32 v29, 0x3f3d2fb0, v21
	v_add_f32_e32 v20, v20, v36
	v_fma_f32 v36, 0xbf1a4643, v21, -v37
	v_add_f32_e32 v35, v72, v76
	v_add_f32_e32 v33, v33, v34
	v_mul_f32_e32 v34, 0xbeb8f4ab, v23
	v_mul_f32_e32 v23, 0xbf763a35, v23
	v_add_f32_e32 v26, v26, v36
	v_fma_f32 v36, 0xbf7ba420, v21, -v41
	v_sub_f32_e32 v25, v29, v25
	v_add_f32_e32 v35, v35, v61
	v_add_f32_e32 v18, v18, v62
	v_fmac_f32_e32 v40, 0x3dbcf732, v21
	v_add_f32_e32 v24, v24, v36
	v_fma_f32 v29, 0xbe8c1d8e, v21, -v23
	v_mul_f32_e32 v36, 0xbe3c28d5, v13
	v_fmac_f32_e32 v23, 0xbe8c1d8e, v21
	v_add_f32_e32 v16, v16, v25
	v_mul_f32_e32 v25, 0x3eb8f4ab, v13
	v_add_f32_e32 v35, v35, v58
	v_add_f32_e32 v18, v18, v59
	v_fmac_f32_e32 v37, 0xbf1a4643, v21
	v_add_f32_e32 v39, v39, v40
	v_fma_f32 v40, 0x3f6eb680, v21, -v34
	v_fmac_f32_e32 v34, 0x3f6eb680, v21
	v_fmac_f32_e32 v41, 0xbf7ba420, v21
	v_add_f32_e32 v21, v30, v29
	v_fma_f32 v29, 0xbf7ba420, v15, -v36
	v_add_f32_e32 v8, v8, v23
	v_mul_f32_e32 v23, 0xbf06c442, v13
	v_fma_f32 v30, 0x3f6eb680, v15, -v25
	v_add_f32_e32 v35, v35, v55
	v_add_f32_e32 v18, v18, v56
	;; [unrolled: 1-line block ×3, first 2 shown]
	v_fma_f32 v29, 0xbf59a7d5, v15, -v23
	v_fmac_f32_e32 v36, 0xbf7ba420, v15
	v_fmac_f32_e32 v25, 0x3f6eb680, v15
	v_add_f32_e32 v28, v28, v30
	v_mul_f32_e32 v30, 0x3f2c7751, v13
	v_add_f32_e32 v35, v35, v52
	v_add_f32_e32 v18, v18, v53
	v_add_f32_e32 v20, v20, v29
	v_mul_f32_e32 v29, 0xbf4c4adb, v13
	v_mul_f32_e32 v19, 0xbe8c1d8e, v15
	v_add_f32_e32 v14, v14, v36
	v_add_f32_e32 v25, v33, v25
	v_fma_f32 v33, 0x3f3d2fb0, v15, -v30
	v_mul_f32_e32 v36, 0x3f65296c, v13
	v_mul_f32_e32 v13, 0x3f7ee86f, v13
	v_add_f32_e32 v35, v35, v37
	v_add_f32_e32 v18, v18, v40
	v_fma_f32 v37, 0xbf1a4643, v15, -v29
	v_add_f32_e32 v26, v26, v33
	v_fma_f32 v33, 0x3ee437d1, v15, -v36
	v_sub_f32_e32 v17, v19, v17
	v_fma_f32 v19, 0x3dbcf732, v15, -v13
	v_fmac_f32_e32 v13, 0x3dbcf732, v15
	v_add_f32_e32 v12, v12, v34
	v_add_f32_e32 v34, v38, v41
	v_fmac_f32_e32 v23, 0xbf59a7d5, v15
	v_fmac_f32_e32 v30, 0x3f3d2fb0, v15
	;; [unrolled: 1-line block ×4, first 2 shown]
	v_lshl_add_u32 v15, v3, 6, v0
	v_add_f32_e32 v18, v18, v37
	v_add_f32_e32 v24, v24, v33
	;; [unrolled: 1-line block ×9, first 2 shown]
	ds_write2_b32 v15, v10, v22 offset1:1
	ds_write2_b32 v15, v28, v20 offset0:2 offset1:3
	ds_write2_b32 v15, v26, v18 offset0:4 offset1:5
	;; [unrolled: 1-line block ×7, first 2 shown]
	ds_write_b32 v15, v14 offset:64
.LBB0_15:
	s_or_b32 exec_lo, exec_lo, s1
	v_and_b32_e32 v8, 0xff, v3
	v_mov_b32_e32 v10, 9
	s_load_dwordx2 s[2:3], s[2:3], 0x0
	s_waitcnt lgkmcnt(0)
	s_barrier
	v_mul_lo_u16 v8, 0xf1, v8
	buffer_gl0_inv
	v_mov_b32_e32 v24, 2
	v_cmp_gt_u32_e64 s0, 0xaa, v3
	v_lshrrev_b16 v22, 12, v8
	v_mul_lo_u16 v8, v22, 17
	v_sub_nc_u16 v23, v3, v8
	v_mul_u32_u24_sdwa v8, v23, v10 dst_sel:DWORD dst_unused:UNUSED_PAD src0_sel:BYTE_0 src1_sel:DWORD
	v_lshlrev_b32_e32 v8, 3, v8
	s_clause 0x4
	global_load_dwordx4 v[12:15], v8, s[12:13]
	global_load_dwordx4 v[16:19], v8, s[12:13] offset:16
	global_load_dwordx4 v[34:37], v8, s[12:13] offset:32
	;; [unrolled: 1-line block ×3, first 2 shown]
	global_load_dwordx2 v[51:52], v8, s[12:13] offset:64
	ds_read2_b32 v[25:26], v0 offset1:187
	ds_read2_b32 v[20:21], v9 offset0:54 offset1:241
	ds_read2_b32 v[10:11], v11 offset0:44 offset1:231
	;; [unrolled: 1-line block ×4, first 2 shown]
	v_mov_b32_e32 v9, 0x2a8
	s_waitcnt vmcnt(0) lgkmcnt(0)
	s_barrier
	buffer_gl0_inv
	v_mul_u32_u24_sdwa v9, v22, v9 dst_sel:DWORD dst_unused:UNUSED_PAD src0_sel:WORD_0 src1_sel:DWORD
	v_lshlrev_b32_sdwa v22, v24, v23 dst_sel:DWORD dst_unused:UNUSED_PAD src0_sel:DWORD src1_sel:BYTE_0
	v_add3_u32 v4, 0, v9, v22
	v_mul_f32_e32 v9, v26, v13
	v_mul_f32_e32 v13, v32, v13
	;; [unrolled: 1-line block ×17, first 2 shown]
	v_fma_f32 v19, v26, v12, -v13
	v_fmac_f32_e32 v33, v48, v14
	v_fma_f32 v24, v20, v14, -v15
	v_fmac_f32_e32 v30, v49, v16
	;; [unrolled: 2-line block ×5, first 2 shown]
	v_fmac_f32_e32 v57, v45, v38
	v_fma_f32 v20, v8, v38, -v39
	v_fmac_f32_e32 v37, v42, v40
	v_fmac_f32_e32 v58, v43, v51
	v_fma_f32 v10, v54, v51, -v52
	v_mul_f32_e32 v41, v42, v41
	v_fmac_f32_e32 v9, v32, v12
	v_fma_f32 v29, v7, v36, -v56
	v_add_f32_e32 v8, v23, v28
	v_add_f32_e32 v15, v33, v37
	;; [unrolled: 1-line block ×3, first 2 shown]
	v_sub_f32_e32 v35, v30, v55
	v_sub_f32_e32 v36, v58, v57
	v_add_f32_e32 v43, v21, v20
	v_add_f32_e32 v48, v22, v10
	v_fma_f32 v32, v53, v40, -v41
	v_add_f32_e32 v7, v31, v33
	v_sub_f32_e32 v13, v33, v23
	v_sub_f32_e32 v14, v37, v28
	;; [unrolled: 1-line block ×4, first 2 shown]
	v_add_f32_e32 v18, v9, v30
	v_add_f32_e32 v38, v30, v58
	v_sub_f32_e32 v39, v55, v30
	v_sub_f32_e32 v40, v57, v58
	;; [unrolled: 1-line block ×4, first 2 shown]
	v_fma_f32 v52, -0.5, v8, v31
	v_fmac_f32_e32 v31, -0.5, v15
	v_fma_f32 v30, -0.5, v34, v9
	v_add_f32_e32 v15, v35, v36
	v_fma_f32 v34, -0.5, v43, v19
	v_fma_f32 v35, -0.5, v48, v19
	v_sub_f32_e32 v11, v24, v32
	v_sub_f32_e32 v12, v26, v29
	;; [unrolled: 1-line block ×8, first 2 shown]
	v_add_f32_e32 v8, v13, v14
	v_add_f32_e32 v13, v16, v17
	v_fmac_f32_e32 v9, -0.5, v38
	v_add_f32_e32 v16, v39, v40
	v_fmamk_f32 v40, v44, 0x3f737871, v34
	v_fmac_f32_e32 v34, 0xbf737871, v44
	v_fmamk_f32 v39, v45, 0xbf737871, v35
	v_fmac_f32_e32 v35, 0x3f737871, v45
	v_add_f32_e32 v14, v18, v55
	v_add_f32_e32 v17, v46, v47
	;; [unrolled: 1-line block ×3, first 2 shown]
	v_fmamk_f32 v43, v11, 0xbf737871, v52
	v_fmac_f32_e32 v52, 0x3f737871, v11
	v_fmamk_f32 v46, v12, 0x3f737871, v31
	v_fmac_f32_e32 v31, 0xbf737871, v12
	;; [unrolled: 2-line block ×4, first 2 shown]
	v_fmac_f32_e32 v40, 0x3f167918, v45
	v_fmac_f32_e32 v34, 0xbf167918, v45
	;; [unrolled: 1-line block ×4, first 2 shown]
	v_add_f32_e32 v7, v7, v23
	v_add_f32_e32 v14, v14, v57
	v_fmac_f32_e32 v43, 0xbf167918, v12
	v_fmac_f32_e32 v52, 0x3f167918, v12
	;; [unrolled: 1-line block ×12, first 2 shown]
	v_add_f32_e32 v7, v7, v28
	v_add_f32_e32 v11, v14, v58
	v_fmac_f32_e32 v43, 0x3e9e377a, v8
	v_fmac_f32_e32 v52, 0x3e9e377a, v8
	;; [unrolled: 1-line block ×8, first 2 shown]
	v_mul_f32_e32 v13, 0xbf167918, v40
	v_mul_f32_e32 v14, 0xbf737871, v39
	;; [unrolled: 1-line block ×4, first 2 shown]
	v_add_f32_e32 v47, v7, v37
	v_fmac_f32_e32 v13, 0x3f4f1bbd, v36
	v_fmac_f32_e32 v14, 0x3e9e377a, v38
	v_fmamk_f32 v17, v9, 0xbe9e377a, v8
	v_fmamk_f32 v18, v30, 0xbf4f1bbd, v12
	v_add_f32_e32 v7, v47, v11
	v_sub_f32_e32 v12, v47, v11
	v_add_f32_e32 v8, v43, v13
	v_add_f32_e32 v15, v46, v14
	;; [unrolled: 1-line block ×4, first 2 shown]
	v_sub_f32_e32 v13, v43, v13
	v_sub_f32_e32 v14, v46, v14
	;; [unrolled: 1-line block ×4, first 2 shown]
	ds_write2_b32 v4, v7, v8 offset1:17
	ds_write2_b32 v4, v15, v16 offset0:34 offset1:51
	ds_write2_b32 v4, v11, v12 offset0:68 offset1:85
	;; [unrolled: 1-line block ×4, first 2 shown]
	s_waitcnt lgkmcnt(0)
	s_barrier
	buffer_gl0_inv
	s_and_saveexec_b32 s1, s0
	s_cbranch_execz .LBB0_17
; %bb.16:
	v_add_nc_u32_e32 v11, 0x400, v0
	v_add_nc_u32_e32 v12, 0xa00, v0
	v_add_nc_u32_e32 v13, 0xf00, v0
	v_add_nc_u32_e32 v17, 0x1400, v0
	ds_read2_b32 v[7:8], v0 offset1:170
	ds_read2_b32 v[15:16], v11 offset0:84 offset1:254
	ds_read2_b32 v[11:12], v12 offset0:40 offset1:210
	;; [unrolled: 1-line block ×4, first 2 shown]
	ds_read_b32 v50, v0 offset:6800
.LBB0_17:
	s_or_b32 exec_lo, exec_lo, s1
	v_add_f32_e32 v41, v26, v29
	v_add_f32_e32 v42, v24, v32
	;; [unrolled: 1-line block ×3, first 2 shown]
	v_sub_f32_e32 v23, v23, v28
	v_sub_f32_e32 v33, v33, v37
	v_fma_f32 v41, -0.5, v41, v25
	v_fmac_f32_e32 v25, -0.5, v42
	v_sub_f32_e32 v37, v24, v26
	v_add_f32_e32 v31, v31, v26
	v_sub_f32_e32 v24, v26, v24
	v_sub_f32_e32 v26, v29, v32
	v_fmamk_f32 v42, v23, 0xbf737871, v25
	v_fmac_f32_e32 v25, 0x3f737871, v23
	v_add_f32_e32 v19, v19, v22
	v_sub_f32_e32 v43, v32, v29
	v_add_f32_e32 v28, v31, v29
	v_fmamk_f32 v31, v33, 0x3f737871, v41
	v_fmac_f32_e32 v41, 0xbf737871, v33
	v_fmac_f32_e32 v42, 0x3f167918, v33
	v_add_f32_e32 v22, v24, v26
	v_fmac_f32_e32 v25, 0xbf167918, v33
	v_add_f32_e32 v19, v19, v21
	v_add_f32_e32 v37, v37, v43
	v_fmac_f32_e32 v31, 0x3f167918, v23
	v_fmac_f32_e32 v41, 0xbf167918, v23
	;; [unrolled: 1-line block ×4, first 2 shown]
	v_add_f32_e32 v19, v19, v20
	v_mul_f32_e32 v21, 0x3f4f1bbd, v40
	v_mul_f32_e32 v22, 0x3e9e377a, v39
	;; [unrolled: 1-line block ×4, first 2 shown]
	v_add_f32_e32 v28, v28, v32
	v_fmac_f32_e32 v31, 0x3e9e377a, v37
	v_fmac_f32_e32 v41, 0x3e9e377a, v37
	v_add_f32_e32 v26, v19, v10
	v_fmac_f32_e32 v21, 0x3f167918, v36
	v_fmac_f32_e32 v22, 0x3f737871, v38
	v_fma_f32 v29, 0x3f737871, v9, -v20
	v_fma_f32 v30, 0x3f167918, v30, -v23
	v_add_f32_e32 v9, v28, v26
	v_add_f32_e32 v10, v31, v21
	;; [unrolled: 1-line block ×5, first 2 shown]
	v_sub_f32_e32 v20, v28, v26
	v_sub_f32_e32 v21, v31, v21
	;; [unrolled: 1-line block ×5, first 2 shown]
	s_waitcnt lgkmcnt(0)
	s_barrier
	buffer_gl0_inv
	ds_write2_b32 v4, v9, v10 offset1:17
	ds_write2_b32 v4, v23, v24 offset0:34 offset1:51
	ds_write2_b32 v4, v19, v20 offset0:68 offset1:85
	;; [unrolled: 1-line block ×4, first 2 shown]
	s_waitcnt lgkmcnt(0)
	s_barrier
	buffer_gl0_inv
	s_and_saveexec_b32 s1, s0
	s_cbranch_execnz .LBB0_20
; %bb.18:
	s_or_b32 exec_lo, exec_lo, s1
	s_and_b32 s0, vcc_lo, s0
	s_and_saveexec_b32 s1, s0
	s_cbranch_execnz .LBB0_21
.LBB0_19:
	s_endpgm
.LBB0_20:
	v_add_nc_u32_e32 v4, 0x400, v0
	v_add_nc_u32_e32 v19, 0xa00, v0
	v_add_nc_u32_e32 v21, 0xf00, v0
	v_add_nc_u32_e32 v25, 0x1400, v0
	ds_read2_b32 v[9:10], v0 offset1:170
	ds_read2_b32 v[23:24], v4 offset0:84 offset1:254
	ds_read2_b32 v[19:20], v19 offset0:40 offset1:210
	;; [unrolled: 1-line block ×4, first 2 shown]
	ds_read_b32 v27, v0 offset:6800
	s_or_b32 exec_lo, exec_lo, s1
	s_and_b32 s0, vcc_lo, s0
	s_and_saveexec_b32 s1, s0
	s_cbranch_execz .LBB0_19
.LBB0_21:
	v_mul_u32_u24_e32 v0, 10, v3
	v_mul_lo_u32 v6, s2, v6
	v_lshlrev_b32_e32 v0, 3, v0
	s_clause 0x4
	global_load_dwordx4 v[32:35], v0, s[12:13] offset:1224
	global_load_dwordx4 v[36:39], v0, s[12:13] offset:1288
	;; [unrolled: 1-line block ×5, first 2 shown]
	v_mul_lo_u32 v0, s3, v5
	v_mad_u64_u32 v[4:5], null, s2, v5, 0
	v_add3_u32 v5, v5, v6, v0
	v_lshlrev_b64 v[0:1], 3, v[1:2]
	v_lshlrev_b64 v[5:6], 3, v[4:5]
	v_mov_b32_e32 v4, 0
	v_lshlrev_b64 v[2:3], 3, v[3:4]
	v_add_co_u32 v5, vcc_lo, s10, v5
	v_add_co_ci_u32_e32 v6, vcc_lo, s11, v6, vcc_lo
	v_add_co_u32 v0, vcc_lo, v5, v0
	v_add_co_ci_u32_e32 v1, vcc_lo, v6, v1, vcc_lo
	;; [unrolled: 2-line block ×3, first 2 shown]
	s_waitcnt vmcnt(4) lgkmcnt(5)
	v_mul_f32_e32 v48, v10, v33
	s_waitcnt vmcnt(3) lgkmcnt(0)
	v_mul_f32_e32 v2, v27, v39
	v_mul_f32_e32 v5, v50, v39
	;; [unrolled: 1-line block ×5, first 2 shown]
	s_waitcnt vmcnt(2)
	v_mul_f32_e32 v39, v24, v41
	s_waitcnt vmcnt(1)
	v_mul_f32_e32 v4, v25, v47
	v_mul_f32_e32 v31, v19, v43
	;; [unrolled: 1-line block ×9, first 2 shown]
	s_waitcnt vmcnt(0)
	v_mul_f32_e32 v30, v20, v52
	v_mul_f32_e32 v29, v21, v54
	;; [unrolled: 1-line block ×4, first 2 shown]
	v_fmac_f32_e32 v48, v8, v32
	v_fmac_f32_e32 v2, v50, v38
	v_fma_f32 v5, v27, v38, -v5
	v_fma_f32 v27, v10, v32, -v6
	v_fmac_f32_e32 v33, v15, v34
	v_fmac_f32_e32 v3, v18, v36
	;; [unrolled: 1-line block ×6, first 2 shown]
	v_fma_f32 v6, v26, v36, -v37
	v_fma_f32 v15, v23, v34, -v35
	;; [unrolled: 1-line block ×6, first 2 shown]
	v_fmac_f32_e32 v30, v12, v51
	v_fmac_f32_e32 v29, v13, v53
	v_fma_f32 v11, v21, v53, -v49
	v_fma_f32 v12, v20, v51, -v52
	v_sub_f32_e32 v13, v48, v2
	v_add_f32_e32 v17, v27, v5
	v_sub_f32_e32 v18, v33, v3
	v_sub_f32_e32 v20, v39, v4
	;; [unrolled: 1-line block ×4, first 2 shown]
	v_add_f32_e32 v27, v9, v27
	v_add_f32_e32 v38, v7, v48
	;; [unrolled: 1-line block ×7, first 2 shown]
	v_sub_f32_e32 v35, v15, v6
	v_sub_f32_e32 v37, v16, v8
	;; [unrolled: 1-line block ×4, first 2 shown]
	v_mul_f32_e32 v44, 0xbf7d64f0, v13
	v_mul_f32_e32 v45, 0x3e903f40, v18
	;; [unrolled: 1-line block ×19, first 2 shown]
	v_add_f32_e32 v15, v27, v15
	v_add_f32_e32 v27, v38, v33
	v_sub_f32_e32 v24, v30, v29
	v_add_f32_e32 v34, v33, v3
	v_add_f32_e32 v36, v39, v4
	;; [unrolled: 1-line block ×4, first 2 shown]
	v_mul_f32_e32 v50, 0x3e903f40, v35
	v_mul_f32_e32 v57, 0x3f7d64f0, v35
	;; [unrolled: 1-line block ×28, first 2 shown]
	v_fmamk_f32 v87, v17, 0xbe11bafb, v44
	v_fmamk_f32 v88, v19, 0xbf75a155, v45
	v_fmamk_f32 v89, v21, 0x3ed4b147, v46
	v_fmamk_f32 v90, v23, 0x3f575c64, v47
	v_fma_f32 v92, 0xbe11bafb, v26, -v49
	v_fmamk_f32 v94, v17, 0xbf27a4f4, v51
	v_fmamk_f32 v95, v19, 0xbe11bafb, v52
	v_fmamk_f32 v96, v21, 0x3f575c64, v53
	v_fmamk_f32 v97, v23, 0xbf75a155, v54
	v_fma_f32 v99, 0xbf27a4f4, v26, -v56
	;; [unrolled: 5-line block ×3, first 2 shown]
	v_fma_f32 v51, 0xbf27a4f4, v17, -v51
	v_fma_f32 v17, 0xbe11bafb, v17, -v44
	;; [unrolled: 1-line block ×10, first 2 shown]
	v_fmac_f32_e32 v63, 0xbf75a155, v26
	v_fma_f32 v54, 0xbf75a155, v23, -v54
	v_fmac_f32_e32 v56, 0xbf27a4f4, v26
	v_fma_f32 v47, 0x3f575c64, v23, -v47
	v_fmac_f32_e32 v49, 0xbe11bafb, v26
	v_fmamk_f32 v21, v13, 0x3f68dda4, v66
	v_fmamk_f32 v23, v13, 0x3f0a6770, v73
	v_fmac_f32_e32 v66, 0xbf68dda4, v13
	v_fmac_f32_e32 v73, 0xbf0a6770, v13
	v_fmamk_f32 v13, v26, 0x3ed4b147, v71
	v_fmamk_f32 v106, v26, 0x3f575c64, v32
	v_fma_f32 v71, 0x3ed4b147, v26, -v71
	v_fma_f32 v26, 0x3f575c64, v26, -v32
	v_add_f32_e32 v109, v15, v16
	v_add_f32_e32 v27, v27, v39
	v_mul_f32_e32 v48, 0xbf4178ce, v24
	v_mul_f32_e32 v55, 0x3f68dda4, v24
	;; [unrolled: 1-line block ×3, first 2 shown]
	v_fma_f32 v93, 0xbf75a155, v34, -v50
	v_fma_f32 v100, 0xbe11bafb, v34, -v57
	;; [unrolled: 1-line block ×3, first 2 shown]
	v_fmac_f32_e32 v64, 0x3f575c64, v34
	v_fmac_f32_e32 v57, 0xbe11bafb, v34
	;; [unrolled: 1-line block ×3, first 2 shown]
	v_fmamk_f32 v107, v22, 0xbf7d64f0, v69
	v_fmamk_f32 v108, v24, 0xbf0a6770, v70
	;; [unrolled: 1-line block ×5, first 2 shown]
	v_fmac_f32_e32 v69, 0x3f7d64f0, v22
	v_fmac_f32_e32 v76, 0xbf4178ce, v22
	v_fmamk_f32 v113, v24, 0x3e903f40, v77
	v_fmac_f32_e32 v70, 0x3f0a6770, v24
	v_fmac_f32_e32 v77, 0xbe903f40, v24
	v_fmamk_f32 v114, v34, 0x3ed4b147, v35
	v_fma_f32 v72, 0xbf27a4f4, v34, -v72
	v_fma_f32 v34, 0x3ed4b147, v34, -v35
	v_fma_f32 v35, 0xbf27a4f4, v36, -v65
	v_fmac_f32_e32 v65, 0xbf27a4f4, v36
	v_fma_f32 v115, 0x3f575c64, v36, -v38
	v_fmac_f32_e32 v38, 0x3f575c64, v36
	v_fma_f32 v116, 0x3ed4b147, v36, -v33
	v_fmac_f32_e32 v33, 0x3ed4b147, v36
	v_fmamk_f32 v117, v36, 0xbf75a155, v78
	v_fma_f32 v78, 0xbf75a155, v36, -v78
	v_fmamk_f32 v118, v36, 0xbe11bafb, v37
	v_fma_f32 v36, 0xbe11bafb, v36, -v37
	v_fma_f32 v37, 0x3ed4b147, v41, -v81
	v_fmac_f32_e32 v81, 0x3ed4b147, v41
	v_fma_f32 v119, 0xbf75a155, v41, -v80
	v_fmac_f32_e32 v80, 0xbf75a155, v41
	;; [unrolled: 2-line block ×3, first 2 shown]
	v_fmamk_f32 v121, v41, 0xbe11bafb, v82
	v_fma_f32 v82, 0xbe11bafb, v41, -v82
	v_fmamk_f32 v122, v41, 0xbf27a4f4, v40
	v_fma_f32 v40, 0xbf27a4f4, v41, -v40
	v_fma_f32 v41, 0xbe11bafb, v43, -v85
	v_fmac_f32_e32 v85, 0xbe11bafb, v43
	v_fma_f32 v123, 0x3ed4b147, v43, -v84
	v_fmac_f32_e32 v84, 0x3ed4b147, v43
	;; [unrolled: 2-line block ×3, first 2 shown]
	v_fmamk_f32 v125, v43, 0x3f575c64, v86
	v_fma_f32 v86, 0x3f575c64, v43, -v86
	v_fmamk_f32 v126, v43, 0xbf75a155, v42
	v_fma_f32 v42, 0xbf75a155, v43, -v42
	v_add_f32_e32 v22, v9, v87
	v_add_f32_e32 v24, v9, v94
	;; [unrolled: 1-line block ×22, first 2 shown]
	v_fmamk_f32 v91, v25, 0xbf27a4f4, v48
	v_fmamk_f32 v98, v25, 0x3ed4b147, v55
	;; [unrolled: 1-line block ×3, first 2 shown]
	v_fma_f32 v62, 0xbe11bafb, v25, -v62
	v_fma_f32 v55, 0x3ed4b147, v25, -v55
	;; [unrolled: 1-line block ×3, first 2 shown]
	v_fmamk_f32 v25, v18, 0x3f4178ce, v67
	v_fmac_f32_e32 v67, 0xbf4178ce, v18
	v_fmamk_f32 v111, v20, 0x3f7d64f0, v75
	v_add_f32_e32 v43, v43, v102
	v_add_f32_e32 v51, v51, v52
	;; [unrolled: 1-line block ×5, first 2 shown]
	v_fmamk_f32 v32, v20, 0xbe903f40, v68
	v_fmac_f32_e32 v68, 0x3e903f40, v20
	v_add_f32_e32 v52, v56, v57
	v_add_f32_e32 v49, v49, v50
	v_add_f32_e32 v27, v66, v67
	v_add_f32_e32 v7, v7, v34
	v_add_f32_e32 v43, v43, v103
	v_add_f32_e32 v51, v51, v53
	v_add_f32_e32 v39, v39, v111
	v_add_f32_e32 v11, v12, v11
	v_add_f32_e32 v12, v26, v29
	v_fmac_f32_e32 v74, 0xbf68dda4, v18
	v_add_f32_e32 v73, v73, v105
	v_add_f32_e32 v58, v58, v59
	v_add_f32_e32 v59, v63, v64
	v_add_f32_e32 v45, v87, v45
	v_add_f32_e32 v56, v99, v114
	v_add_f32_e32 v31, v22, v88
	v_add_f32_e32 v88, v21, v93
	v_add_f32_e32 v93, v24, v95
	v_add_f32_e32 v95, v23, v100
	v_add_f32_e32 v25, v94, v25
	v_add_f32_e32 v50, v92, v110
	v_add_co_u32 v15, vcc_lo, 0x800, v0
	v_add_f32_e32 v38, v52, v38
	v_add_f32_e32 v33, v49, v33
	;; [unrolled: 1-line block ×9, first 2 shown]
	v_fmac_f32_e32 v75, 0xbf7d64f0, v20
	v_add_co_ci_u32_e32 v16, vcc_lo, 0, v1, vcc_lo
	v_add_f32_e32 v30, v71, v72
	v_add_f32_e32 v9, v9, v74
	;; [unrolled: 1-line block ×7, first 2 shown]
	v_add_co_u32 v17, vcc_lo, 0x1000, v0
	v_add_f32_e32 v31, v31, v89
	v_add_f32_e32 v34, v88, v116
	;; [unrolled: 1-line block ×6, first 2 shown]
	v_add_co_ci_u32_e32 v18, vcc_lo, 0, v1, vcc_lo
	v_add_co_u32 v19, vcc_lo, 0x1800, v0
	v_add_f32_e32 v53, v26, v69
	v_add_f32_e32 v26, v36, v44
	;; [unrolled: 1-line block ×11, first 2 shown]
	v_add_co_ci_u32_e32 v20, vcc_lo, 0, v1, vcc_lo
	v_add_f32_e32 v29, v31, v90
	v_add_f32_e32 v30, v34, v120
	;; [unrolled: 1-line block ×8, first 2 shown]
	v_add_co_u32 v13, vcc_lo, 0x2000, v0
	v_add_f32_e32 v38, v38, v80
	v_add_co_ci_u32_e32 v14, vcc_lo, 0, v1, vcc_lo
	v_add_f32_e32 v6, v6, v39
	v_add_f32_e32 v4, v3, v4
	v_add_co_u32 v21, vcc_lo, 0x2800, v0
	v_add_f32_e32 v54, v27, v82
	v_add_f32_e32 v56, v9, v76
	;; [unrolled: 1-line block ×12, first 2 shown]
	v_add_co_ci_u32_e32 v22, vcc_lo, 0, v1, vcc_lo
	v_add_f32_e32 v32, v45, v48
	v_add_co_u32 v23, vcc_lo, 0x3000, v0
	v_add_f32_e32 v10, v29, v91
	v_add_f32_e32 v9, v30, v124
	;; [unrolled: 1-line block ×6, first 2 shown]
	v_add_co_ci_u32_e32 v24, vcc_lo, 0, v1, vcc_lo
	v_add_f32_e32 v8, v53, v70
	v_add_f32_e32 v7, v54, v86
	;; [unrolled: 1-line block ×4, first 2 shown]
	global_store_dwordx2 v[0:1], v[35:36], off offset:1360
	global_store_dwordx2 v[15:16], v[33:34], off offset:672
	;; [unrolled: 1-line block ×8, first 2 shown]
	global_store_dwordx2 v[0:1], v[2:3], off
	global_store_dwordx2 v[21:22], v[7:8], off offset:2000
	global_store_dwordx2 v[23:24], v[37:38], off offset:1312
	s_endpgm
	.section	.rodata,"a",@progbits
	.p2align	6, 0x0
	.amdhsa_kernel fft_rtc_back_len1870_factors_17_10_11_wgs_187_tpt_187_halfLds_sp_op_CI_CI_unitstride_sbrr_dirReg
		.amdhsa_group_segment_fixed_size 0
		.amdhsa_private_segment_fixed_size 0
		.amdhsa_kernarg_size 104
		.amdhsa_user_sgpr_count 6
		.amdhsa_user_sgpr_private_segment_buffer 1
		.amdhsa_user_sgpr_dispatch_ptr 0
		.amdhsa_user_sgpr_queue_ptr 0
		.amdhsa_user_sgpr_kernarg_segment_ptr 1
		.amdhsa_user_sgpr_dispatch_id 0
		.amdhsa_user_sgpr_flat_scratch_init 0
		.amdhsa_user_sgpr_private_segment_size 0
		.amdhsa_wavefront_size32 1
		.amdhsa_uses_dynamic_stack 0
		.amdhsa_system_sgpr_private_segment_wavefront_offset 0
		.amdhsa_system_sgpr_workgroup_id_x 1
		.amdhsa_system_sgpr_workgroup_id_y 0
		.amdhsa_system_sgpr_workgroup_id_z 0
		.amdhsa_system_sgpr_workgroup_info 0
		.amdhsa_system_vgpr_workitem_id 0
		.amdhsa_next_free_vgpr 127
		.amdhsa_next_free_sgpr 27
		.amdhsa_reserve_vcc 1
		.amdhsa_reserve_flat_scratch 0
		.amdhsa_float_round_mode_32 0
		.amdhsa_float_round_mode_16_64 0
		.amdhsa_float_denorm_mode_32 3
		.amdhsa_float_denorm_mode_16_64 3
		.amdhsa_dx10_clamp 1
		.amdhsa_ieee_mode 1
		.amdhsa_fp16_overflow 0
		.amdhsa_workgroup_processor_mode 1
		.amdhsa_memory_ordered 1
		.amdhsa_forward_progress 0
		.amdhsa_shared_vgpr_count 0
		.amdhsa_exception_fp_ieee_invalid_op 0
		.amdhsa_exception_fp_denorm_src 0
		.amdhsa_exception_fp_ieee_div_zero 0
		.amdhsa_exception_fp_ieee_overflow 0
		.amdhsa_exception_fp_ieee_underflow 0
		.amdhsa_exception_fp_ieee_inexact 0
		.amdhsa_exception_int_div_zero 0
	.end_amdhsa_kernel
	.text
.Lfunc_end0:
	.size	fft_rtc_back_len1870_factors_17_10_11_wgs_187_tpt_187_halfLds_sp_op_CI_CI_unitstride_sbrr_dirReg, .Lfunc_end0-fft_rtc_back_len1870_factors_17_10_11_wgs_187_tpt_187_halfLds_sp_op_CI_CI_unitstride_sbrr_dirReg
                                        ; -- End function
	.section	.AMDGPU.csdata,"",@progbits
; Kernel info:
; codeLenInByte = 10672
; NumSgprs: 29
; NumVgprs: 127
; ScratchSize: 0
; MemoryBound: 0
; FloatMode: 240
; IeeeMode: 1
; LDSByteSize: 0 bytes/workgroup (compile time only)
; SGPRBlocks: 3
; VGPRBlocks: 15
; NumSGPRsForWavesPerEU: 29
; NumVGPRsForWavesPerEU: 127
; Occupancy: 8
; WaveLimiterHint : 1
; COMPUTE_PGM_RSRC2:SCRATCH_EN: 0
; COMPUTE_PGM_RSRC2:USER_SGPR: 6
; COMPUTE_PGM_RSRC2:TRAP_HANDLER: 0
; COMPUTE_PGM_RSRC2:TGID_X_EN: 1
; COMPUTE_PGM_RSRC2:TGID_Y_EN: 0
; COMPUTE_PGM_RSRC2:TGID_Z_EN: 0
; COMPUTE_PGM_RSRC2:TIDIG_COMP_CNT: 0
	.text
	.p2alignl 6, 3214868480
	.fill 48, 4, 3214868480
	.type	__hip_cuid_9a4ec34863ae78e6,@object ; @__hip_cuid_9a4ec34863ae78e6
	.section	.bss,"aw",@nobits
	.globl	__hip_cuid_9a4ec34863ae78e6
__hip_cuid_9a4ec34863ae78e6:
	.byte	0                               ; 0x0
	.size	__hip_cuid_9a4ec34863ae78e6, 1

	.ident	"AMD clang version 19.0.0git (https://github.com/RadeonOpenCompute/llvm-project roc-6.4.0 25133 c7fe45cf4b819c5991fe208aaa96edf142730f1d)"
	.section	".note.GNU-stack","",@progbits
	.addrsig
	.addrsig_sym __hip_cuid_9a4ec34863ae78e6
	.amdgpu_metadata
---
amdhsa.kernels:
  - .args:
      - .actual_access:  read_only
        .address_space:  global
        .offset:         0
        .size:           8
        .value_kind:     global_buffer
      - .offset:         8
        .size:           8
        .value_kind:     by_value
      - .actual_access:  read_only
        .address_space:  global
        .offset:         16
        .size:           8
        .value_kind:     global_buffer
      - .actual_access:  read_only
        .address_space:  global
        .offset:         24
        .size:           8
        .value_kind:     global_buffer
      - .actual_access:  read_only
        .address_space:  global
        .offset:         32
        .size:           8
        .value_kind:     global_buffer
      - .offset:         40
        .size:           8
        .value_kind:     by_value
      - .actual_access:  read_only
        .address_space:  global
        .offset:         48
        .size:           8
        .value_kind:     global_buffer
      - .actual_access:  read_only
        .address_space:  global
        .offset:         56
        .size:           8
        .value_kind:     global_buffer
      - .offset:         64
        .size:           4
        .value_kind:     by_value
      - .actual_access:  read_only
        .address_space:  global
        .offset:         72
        .size:           8
        .value_kind:     global_buffer
      - .actual_access:  read_only
        .address_space:  global
        .offset:         80
        .size:           8
        .value_kind:     global_buffer
      - .actual_access:  read_only
        .address_space:  global
        .offset:         88
        .size:           8
        .value_kind:     global_buffer
      - .actual_access:  write_only
        .address_space:  global
        .offset:         96
        .size:           8
        .value_kind:     global_buffer
    .group_segment_fixed_size: 0
    .kernarg_segment_align: 8
    .kernarg_segment_size: 104
    .language:       OpenCL C
    .language_version:
      - 2
      - 0
    .max_flat_workgroup_size: 187
    .name:           fft_rtc_back_len1870_factors_17_10_11_wgs_187_tpt_187_halfLds_sp_op_CI_CI_unitstride_sbrr_dirReg
    .private_segment_fixed_size: 0
    .sgpr_count:     29
    .sgpr_spill_count: 0
    .symbol:         fft_rtc_back_len1870_factors_17_10_11_wgs_187_tpt_187_halfLds_sp_op_CI_CI_unitstride_sbrr_dirReg.kd
    .uniform_work_group_size: 1
    .uses_dynamic_stack: false
    .vgpr_count:     127
    .vgpr_spill_count: 0
    .wavefront_size: 32
    .workgroup_processor_mode: 1
amdhsa.target:   amdgcn-amd-amdhsa--gfx1030
amdhsa.version:
  - 1
  - 2
...

	.end_amdgpu_metadata
